;; amdgpu-corpus repo=ROCm/rocFFT kind=compiled arch=gfx906 opt=O3
	.text
	.amdgcn_target "amdgcn-amd-amdhsa--gfx906"
	.amdhsa_code_object_version 6
	.protected	fft_rtc_fwd_len880_factors_2_2_2_2_11_5_wgs_176_tpt_88_halfLds_sp_op_CI_CI_unitstride_sbrr_R2C_dirReg ; -- Begin function fft_rtc_fwd_len880_factors_2_2_2_2_11_5_wgs_176_tpt_88_halfLds_sp_op_CI_CI_unitstride_sbrr_R2C_dirReg
	.globl	fft_rtc_fwd_len880_factors_2_2_2_2_11_5_wgs_176_tpt_88_halfLds_sp_op_CI_CI_unitstride_sbrr_R2C_dirReg
	.p2align	8
	.type	fft_rtc_fwd_len880_factors_2_2_2_2_11_5_wgs_176_tpt_88_halfLds_sp_op_CI_CI_unitstride_sbrr_R2C_dirReg,@function
fft_rtc_fwd_len880_factors_2_2_2_2_11_5_wgs_176_tpt_88_halfLds_sp_op_CI_CI_unitstride_sbrr_R2C_dirReg: ; @fft_rtc_fwd_len880_factors_2_2_2_2_11_5_wgs_176_tpt_88_halfLds_sp_op_CI_CI_unitstride_sbrr_R2C_dirReg
; %bb.0:
	s_load_dwordx4 s[8:11], s[4:5], 0x58
	s_load_dwordx4 s[12:15], s[4:5], 0x0
	;; [unrolled: 1-line block ×3, first 2 shown]
	v_mul_u32_u24_e32 v1, 0x2e9, v0
	v_lshrrev_b32_e32 v7, 16, v1
	v_mov_b32_e32 v3, 0
	s_waitcnt lgkmcnt(0)
	v_cmp_lt_u64_e64 s[0:1], s[14:15], 2
	v_mov_b32_e32 v1, 0
	v_lshl_add_u32 v5, s6, 1, v7
	v_mov_b32_e32 v6, v3
	s_and_b64 vcc, exec, s[0:1]
	v_mov_b32_e32 v2, 0
	s_cbranch_vccnz .LBB0_8
; %bb.1:
	s_load_dwordx2 s[0:1], s[4:5], 0x10
	s_add_u32 s2, s18, 8
	s_addc_u32 s3, s19, 0
	s_add_u32 s6, s16, 8
	v_mov_b32_e32 v1, 0
	s_addc_u32 s7, s17, 0
	v_mov_b32_e32 v2, 0
	s_waitcnt lgkmcnt(0)
	s_add_u32 s20, s0, 8
	v_mov_b32_e32 v21, v2
	s_addc_u32 s21, s1, 0
	s_mov_b64 s[22:23], 1
	v_mov_b32_e32 v20, v1
.LBB0_2:                                ; =>This Inner Loop Header: Depth=1
	s_load_dwordx2 s[24:25], s[20:21], 0x0
                                        ; implicit-def: $vgpr22_vgpr23
	s_waitcnt lgkmcnt(0)
	v_or_b32_e32 v4, s25, v6
	v_cmp_ne_u64_e32 vcc, 0, v[3:4]
	s_and_saveexec_b64 s[0:1], vcc
	s_xor_b64 s[26:27], exec, s[0:1]
	s_cbranch_execz .LBB0_4
; %bb.3:                                ;   in Loop: Header=BB0_2 Depth=1
	v_cvt_f32_u32_e32 v4, s24
	v_cvt_f32_u32_e32 v8, s25
	s_sub_u32 s0, 0, s24
	s_subb_u32 s1, 0, s25
	v_mac_f32_e32 v4, 0x4f800000, v8
	v_rcp_f32_e32 v4, v4
	v_mul_f32_e32 v4, 0x5f7ffffc, v4
	v_mul_f32_e32 v8, 0x2f800000, v4
	v_trunc_f32_e32 v8, v8
	v_mac_f32_e32 v4, 0xcf800000, v8
	v_cvt_u32_f32_e32 v8, v8
	v_cvt_u32_f32_e32 v4, v4
	v_mul_lo_u32 v9, s0, v8
	v_mul_hi_u32 v10, s0, v4
	v_mul_lo_u32 v12, s1, v4
	v_mul_lo_u32 v11, s0, v4
	v_add_u32_e32 v9, v10, v9
	v_add_u32_e32 v9, v9, v12
	v_mul_hi_u32 v10, v4, v11
	v_mul_lo_u32 v12, v4, v9
	v_mul_hi_u32 v14, v4, v9
	v_mul_hi_u32 v13, v8, v11
	v_mul_lo_u32 v11, v8, v11
	v_mul_hi_u32 v15, v8, v9
	v_add_co_u32_e32 v10, vcc, v10, v12
	v_addc_co_u32_e32 v12, vcc, 0, v14, vcc
	v_mul_lo_u32 v9, v8, v9
	v_add_co_u32_e32 v10, vcc, v10, v11
	v_addc_co_u32_e32 v10, vcc, v12, v13, vcc
	v_addc_co_u32_e32 v11, vcc, 0, v15, vcc
	v_add_co_u32_e32 v9, vcc, v10, v9
	v_addc_co_u32_e32 v10, vcc, 0, v11, vcc
	v_add_co_u32_e32 v4, vcc, v4, v9
	v_addc_co_u32_e32 v8, vcc, v8, v10, vcc
	v_mul_lo_u32 v9, s0, v8
	v_mul_hi_u32 v10, s0, v4
	v_mul_lo_u32 v11, s1, v4
	v_mul_lo_u32 v12, s0, v4
	v_add_u32_e32 v9, v10, v9
	v_add_u32_e32 v9, v9, v11
	v_mul_lo_u32 v13, v4, v9
	v_mul_hi_u32 v14, v4, v12
	v_mul_hi_u32 v15, v4, v9
	;; [unrolled: 1-line block ×3, first 2 shown]
	v_mul_lo_u32 v12, v8, v12
	v_mul_hi_u32 v10, v8, v9
	v_add_co_u32_e32 v13, vcc, v14, v13
	v_addc_co_u32_e32 v14, vcc, 0, v15, vcc
	v_mul_lo_u32 v9, v8, v9
	v_add_co_u32_e32 v12, vcc, v13, v12
	v_addc_co_u32_e32 v11, vcc, v14, v11, vcc
	v_addc_co_u32_e32 v10, vcc, 0, v10, vcc
	v_add_co_u32_e32 v9, vcc, v11, v9
	v_addc_co_u32_e32 v10, vcc, 0, v10, vcc
	v_add_co_u32_e32 v4, vcc, v4, v9
	v_addc_co_u32_e32 v10, vcc, v8, v10, vcc
	v_mad_u64_u32 v[8:9], s[0:1], v5, v10, 0
	v_mul_hi_u32 v11, v5, v4
	v_add_co_u32_e32 v12, vcc, v11, v8
	v_addc_co_u32_e32 v13, vcc, 0, v9, vcc
	v_mad_u64_u32 v[8:9], s[0:1], v6, v4, 0
	v_mad_u64_u32 v[10:11], s[0:1], v6, v10, 0
	v_add_co_u32_e32 v4, vcc, v12, v8
	v_addc_co_u32_e32 v4, vcc, v13, v9, vcc
	v_addc_co_u32_e32 v8, vcc, 0, v11, vcc
	v_add_co_u32_e32 v4, vcc, v4, v10
	v_addc_co_u32_e32 v10, vcc, 0, v8, vcc
	v_mul_lo_u32 v11, s25, v4
	v_mul_lo_u32 v12, s24, v10
	v_mad_u64_u32 v[8:9], s[0:1], s24, v4, 0
	v_add3_u32 v9, v9, v12, v11
	v_sub_u32_e32 v11, v6, v9
	v_mov_b32_e32 v12, s25
	v_sub_co_u32_e32 v8, vcc, v5, v8
	v_subb_co_u32_e64 v11, s[0:1], v11, v12, vcc
	v_subrev_co_u32_e64 v12, s[0:1], s24, v8
	v_subbrev_co_u32_e64 v11, s[0:1], 0, v11, s[0:1]
	v_cmp_le_u32_e64 s[0:1], s25, v11
	v_cndmask_b32_e64 v13, 0, -1, s[0:1]
	v_cmp_le_u32_e64 s[0:1], s24, v12
	v_cndmask_b32_e64 v12, 0, -1, s[0:1]
	v_cmp_eq_u32_e64 s[0:1], s25, v11
	v_cndmask_b32_e64 v11, v13, v12, s[0:1]
	v_add_co_u32_e64 v12, s[0:1], 2, v4
	v_addc_co_u32_e64 v13, s[0:1], 0, v10, s[0:1]
	v_add_co_u32_e64 v14, s[0:1], 1, v4
	v_addc_co_u32_e64 v15, s[0:1], 0, v10, s[0:1]
	v_subb_co_u32_e32 v9, vcc, v6, v9, vcc
	v_cmp_ne_u32_e64 s[0:1], 0, v11
	v_cmp_le_u32_e32 vcc, s25, v9
	v_cndmask_b32_e64 v11, v15, v13, s[0:1]
	v_cndmask_b32_e64 v13, 0, -1, vcc
	v_cmp_le_u32_e32 vcc, s24, v8
	v_cndmask_b32_e64 v8, 0, -1, vcc
	v_cmp_eq_u32_e32 vcc, s25, v9
	v_cndmask_b32_e32 v8, v13, v8, vcc
	v_cmp_ne_u32_e32 vcc, 0, v8
	v_cndmask_b32_e64 v8, v14, v12, s[0:1]
	v_cndmask_b32_e32 v23, v10, v11, vcc
	v_cndmask_b32_e32 v22, v4, v8, vcc
.LBB0_4:                                ;   in Loop: Header=BB0_2 Depth=1
	s_andn2_saveexec_b64 s[0:1], s[26:27]
	s_cbranch_execz .LBB0_6
; %bb.5:                                ;   in Loop: Header=BB0_2 Depth=1
	v_cvt_f32_u32_e32 v4, s24
	s_sub_i32 s26, 0, s24
	v_mov_b32_e32 v23, v3
	v_rcp_iflag_f32_e32 v4, v4
	v_mul_f32_e32 v4, 0x4f7ffffe, v4
	v_cvt_u32_f32_e32 v4, v4
	v_mul_lo_u32 v8, s26, v4
	v_mul_hi_u32 v8, v4, v8
	v_add_u32_e32 v4, v4, v8
	v_mul_hi_u32 v4, v5, v4
	v_mul_lo_u32 v8, v4, s24
	v_add_u32_e32 v9, 1, v4
	v_sub_u32_e32 v8, v5, v8
	v_subrev_u32_e32 v10, s24, v8
	v_cmp_le_u32_e32 vcc, s24, v8
	v_cndmask_b32_e32 v8, v8, v10, vcc
	v_cndmask_b32_e32 v4, v4, v9, vcc
	v_add_u32_e32 v9, 1, v4
	v_cmp_le_u32_e32 vcc, s24, v8
	v_cndmask_b32_e32 v22, v4, v9, vcc
.LBB0_6:                                ;   in Loop: Header=BB0_2 Depth=1
	s_or_b64 exec, exec, s[0:1]
	v_mul_lo_u32 v4, v23, s24
	v_mul_lo_u32 v10, v22, s25
	v_mad_u64_u32 v[8:9], s[0:1], v22, s24, 0
	s_load_dwordx2 s[0:1], s[6:7], 0x0
	s_load_dwordx2 s[24:25], s[2:3], 0x0
	v_add3_u32 v4, v9, v10, v4
	v_sub_co_u32_e32 v5, vcc, v5, v8
	v_subb_co_u32_e32 v4, vcc, v6, v4, vcc
	s_waitcnt lgkmcnt(0)
	v_mul_lo_u32 v6, s0, v4
	v_mul_lo_u32 v8, s1, v5
	v_mad_u64_u32 v[1:2], s[0:1], s0, v5, v[1:2]
	v_mul_lo_u32 v4, s24, v4
	v_mul_lo_u32 v9, s25, v5
	v_mad_u64_u32 v[20:21], s[0:1], s24, v5, v[20:21]
	s_add_u32 s22, s22, 1
	s_addc_u32 s23, s23, 0
	s_add_u32 s2, s2, 8
	v_add3_u32 v21, v9, v21, v4
	s_addc_u32 s3, s3, 0
	v_mov_b32_e32 v4, s14
	s_add_u32 s6, s6, 8
	v_mov_b32_e32 v5, s15
	s_addc_u32 s7, s7, 0
	v_cmp_ge_u64_e32 vcc, s[22:23], v[4:5]
	s_add_u32 s20, s20, 8
	v_add3_u32 v2, v8, v2, v6
	s_addc_u32 s21, s21, 0
	s_cbranch_vccnz .LBB0_9
; %bb.7:                                ;   in Loop: Header=BB0_2 Depth=1
	v_mov_b32_e32 v5, v22
	v_mov_b32_e32 v6, v23
	s_branch .LBB0_2
.LBB0_8:
	v_mov_b32_e32 v21, v2
	v_mov_b32_e32 v23, v6
	;; [unrolled: 1-line block ×4, first 2 shown]
.LBB0_9:
	s_load_dwordx2 s[2:3], s[4:5], 0x28
	s_lshl_b64 s[6:7], s[14:15], 3
	s_add_u32 s4, s18, s6
	v_and_b32_e32 v3, 1, v7
	s_addc_u32 s5, s19, s7
	s_waitcnt lgkmcnt(0)
	v_cmp_gt_u64_e64 s[0:1], s[2:3], v[22:23]
	v_cmp_le_u64_e64 s[2:3], s[2:3], v[22:23]
	v_cmp_eq_u32_e32 vcc, 1, v3
	v_mov_b32_e32 v3, 0x371
                                        ; implicit-def: $vgpr24
                                        ; implicit-def: $vgpr26
                                        ; implicit-def: $vgpr32
                                        ; implicit-def: $vgpr30
                                        ; implicit-def: $vgpr28
	s_and_saveexec_b64 s[14:15], s[2:3]
	s_xor_b64 s[2:3], exec, s[14:15]
; %bb.10:
	s_mov_b32 s14, 0x2e8ba2f
	v_mul_hi_u32 v1, v0, s14
	v_mul_u32_u24_e32 v1, 0x58, v1
	v_sub_u32_e32 v24, v0, v1
	v_add_u32_e32 v26, 0x58, v24
	v_add_u32_e32 v32, 0xb0, v24
	;; [unrolled: 1-line block ×4, first 2 shown]
                                        ; implicit-def: $vgpr0
                                        ; implicit-def: $vgpr1_vgpr2
; %bb.11:
	s_or_saveexec_b64 s[2:3], s[2:3]
	v_cndmask_b32_e32 v3, 0, v3, vcc
	v_lshlrev_b32_e32 v36, 3, v3
	s_xor_b64 exec, exec, s[2:3]
	s_cbranch_execz .LBB0_13
; %bb.12:
	s_add_u32 s6, s16, s6
	s_addc_u32 s7, s17, s7
	s_load_dwordx2 s[6:7], s[6:7], 0x0
	s_mov_b32 s14, 0x2e8ba2f
	v_mul_hi_u32 v5, v0, s14
	s_waitcnt lgkmcnt(0)
	v_mul_lo_u32 v6, s7, v22
	v_mul_lo_u32 v7, s6, v23
	v_mad_u64_u32 v[3:4], s[6:7], s6, v22, 0
	v_mul_u32_u24_e32 v5, 0x58, v5
	v_sub_u32_e32 v24, v0, v5
	v_add3_u32 v4, v4, v7, v6
	v_lshlrev_b64 v[3:4], 3, v[3:4]
	v_mov_b32_e32 v0, s9
	v_add_co_u32_e32 v3, vcc, s8, v3
	v_addc_co_u32_e32 v4, vcc, v0, v4, vcc
	v_lshlrev_b64 v[0:1], 3, v[1:2]
	v_lshlrev_b32_e32 v25, 3, v24
	v_add_co_u32_e32 v0, vcc, v3, v0
	v_addc_co_u32_e32 v1, vcc, v4, v1, vcc
	v_add_co_u32_e32 v0, vcc, v0, v25
	v_addc_co_u32_e32 v1, vcc, 0, v1, vcc
	v_add_co_u32_e32 v4, vcc, 0x1000, v0
	global_load_dwordx2 v[2:3], v[0:1], off offset:2112
	v_addc_co_u32_e32 v5, vcc, 0, v1, vcc
	global_load_dwordx2 v[6:7], v[0:1], off offset:2816
	global_load_dwordx2 v[8:9], v[0:1], off offset:3520
	;; [unrolled: 1-line block ×5, first 2 shown]
	global_load_dwordx2 v[16:17], v[0:1], off
	global_load_dwordx2 v[18:19], v[0:1], off offset:704
	global_load_dwordx2 v[33:34], v[4:5], off offset:1536
	;; [unrolled: 1-line block ×3, first 2 shown]
	v_add3_u32 v0, 0, v36, v25
	v_add_u32_e32 v26, 0x58, v24
	v_add_u32_e32 v32, 0xb0, v24
	;; [unrolled: 1-line block ×8, first 2 shown]
	s_waitcnt vmcnt(4)
	ds_write2_b64 v1, v[14:15], v[2:3] offset0:48 offset1:136
	ds_write2_b64 v4, v[6:7], v[8:9] offset0:96 offset1:184
	s_waitcnt vmcnt(2)
	ds_write2_b64 v0, v[16:17], v[18:19] offset1:88
	ds_write2_b64 v5, v[10:11], v[12:13] offset0:16 offset1:104
	s_waitcnt vmcnt(0)
	ds_write2_b64 v25, v[33:34], v[37:38] offset0:64 offset1:152
.LBB0_13:
	s_or_b64 exec, exec, s[2:3]
	v_lshlrev_b32_e32 v25, 3, v24
	v_add3_u32 v27, 0, v25, v36
	v_add_u32_e32 v35, 0, v36
	v_add_u32_e32 v42, 0xc00, v27
	s_load_dwordx2 s[2:3], s[4:5], 0x0
	s_waitcnt lgkmcnt(0)
	s_barrier
	v_add_u32_e32 v29, v35, v25
	ds_read2_b64 v[0:3], v42 offset0:56 offset1:144
	ds_read_b64 v[4:5], v29
	ds_read_b64 v[16:17], v27 offset:6336
	v_add_u32_e32 v18, 0x1000, v27
	v_add_u32_e32 v19, 0x800, v27
	;; [unrolled: 1-line block ×3, first 2 shown]
	s_waitcnt lgkmcnt(1)
	v_sub_f32_e32 v0, v4, v0
	v_sub_f32_e32 v1, v5, v1
	v_fma_f32 v33, v4, 2.0, -v0
	v_fma_f32 v34, v5, 2.0, -v1
	ds_read2_b64 v[4:7], v27 offset0:88 offset1:176
	ds_read2_b64 v[8:11], v18 offset0:104 offset1:192
	;; [unrolled: 1-line block ×3, first 2 shown]
	s_waitcnt lgkmcnt(0)
	s_barrier
	ds_write2_b64 v31, v[33:34], v[0:1] offset1:1
	v_sub_f32_e32 v0, v4, v2
	v_sub_f32_e32 v1, v5, v3
	v_fma_f32 v2, v4, 2.0, -v0
	v_fma_f32 v3, v5, 2.0, -v1
	v_sub_f32_e32 v4, v6, v8
	v_sub_f32_e32 v5, v7, v9
	;; [unrolled: 1-line block ×6, first 2 shown]
	v_lshl_add_u32 v16, v26, 4, v35
	v_and_b32_e32 v43, 1, v24
	v_fma_f32 v6, v6, 2.0, -v4
	v_fma_f32 v7, v7, 2.0, -v5
	;; [unrolled: 1-line block ×6, first 2 shown]
	ds_write2_b64 v16, v[2:3], v[0:1] offset1:1
	v_lshl_add_u32 v0, v32, 4, v35
	v_lshl_add_u32 v1, v30, 4, v35
	;; [unrolled: 1-line block ×3, first 2 shown]
	v_lshlrev_b32_e32 v3, 3, v43
	ds_write2_b64 v0, v[6:7], v[4:5] offset1:1
	ds_write2_b64 v1, v[12:13], v[8:9] offset1:1
	;; [unrolled: 1-line block ×3, first 2 shown]
	s_waitcnt lgkmcnt(0)
	s_barrier
	global_load_dwordx2 v[8:9], v3, s[12:13]
	s_movk_i32 s4, 0xfc
	v_lshlrev_b32_e32 v44, 1, v24
	v_lshlrev_b32_e32 v3, 3, v32
	v_lshlrev_b32_e32 v4, 3, v26
	v_lshlrev_b32_e32 v5, 3, v30
	v_lshlrev_b32_e32 v6, 3, v28
	v_and_or_b32 v7, v44, s4, v43
	v_sub_u32_e32 v37, v0, v3
	v_sub_u32_e32 v31, v16, v4
	;; [unrolled: 1-line block ×4, first 2 shown]
	v_lshl_add_u32 v45, v7, 3, v35
	ds_read2_b64 v[0:3], v42 offset0:56 offset1:144
	ds_read_b64 v[10:11], v29
	ds_read_b64 v[12:13], v27 offset:6336
	ds_read_b64 v[14:15], v37
	ds_read_b64 v[16:17], v31
	;; [unrolled: 1-line block ×4, first 2 shown]
	ds_read2_b64 v[4:7], v18 offset0:104 offset1:192
	s_waitcnt vmcnt(0) lgkmcnt(0)
	s_barrier
	s_movk_i32 s4, 0x1fc
	s_movk_i32 s5, 0x1f8
	v_mul_f32_e32 v46, v9, v1
	v_mul_f32_e32 v47, v9, v0
	v_fma_f32 v0, v8, v0, -v46
	v_fmac_f32_e32 v47, v8, v1
	v_sub_f32_e32 v0, v10, v0
	v_sub_f32_e32 v1, v11, v47
	v_mul_f32_e32 v48, v9, v3
	v_mul_f32_e32 v49, v9, v2
	v_fma_f32 v10, v10, 2.0, -v0
	v_fma_f32 v11, v11, 2.0, -v1
	v_fma_f32 v2, v8, v2, -v48
	v_fmac_f32_e32 v49, v8, v3
	ds_write2_b64 v45, v[10:11], v[0:1] offset1:2
	v_lshlrev_b32_e32 v45, 1, v26
	v_sub_f32_e32 v2, v16, v2
	v_sub_f32_e32 v3, v17, v49
	v_and_or_b32 v0, v45, s4, v43
	v_fma_f32 v16, v16, 2.0, -v2
	v_fma_f32 v17, v17, 2.0, -v3
	v_lshl_add_u32 v0, v0, 3, v35
	ds_write2_b64 v0, v[16:17], v[2:3] offset1:2
	v_mul_f32_e32 v0, v9, v5
	v_mul_f32_e32 v1, v9, v4
	v_fma_f32 v0, v8, v4, -v0
	v_fmac_f32_e32 v1, v8, v5
	s_movk_i32 s4, 0x3fc
	v_lshlrev_b32_e32 v46, 1, v32
	v_sub_f32_e32 v0, v14, v0
	v_sub_f32_e32 v1, v15, v1
	v_and_or_b32 v4, v46, s4, v43
	v_fma_f32 v2, v14, 2.0, -v0
	v_fma_f32 v3, v15, 2.0, -v1
	v_lshl_add_u32 v4, v4, 3, v35
	ds_write2_b64 v4, v[2:3], v[0:1] offset1:2
	v_mul_f32_e32 v0, v9, v7
	v_mul_f32_e32 v1, v9, v6
	v_fma_f32 v0, v8, v6, -v0
	v_fmac_f32_e32 v1, v8, v7
	v_lshlrev_b32_e32 v47, 1, v30
	v_sub_f32_e32 v0, v33, v0
	v_sub_f32_e32 v1, v34, v1
	v_and_or_b32 v4, v47, s4, v43
	v_fma_f32 v2, v33, 2.0, -v0
	v_fma_f32 v3, v34, 2.0, -v1
	v_lshl_add_u32 v4, v4, 3, v35
	ds_write2_b64 v4, v[2:3], v[0:1] offset1:2
	v_mul_f32_e32 v0, v9, v13
	v_mul_f32_e32 v1, v8, v13
	v_fma_f32 v0, v8, v12, -v0
	v_fmac_f32_e32 v1, v9, v12
	v_lshlrev_b32_e32 v48, 1, v28
	v_sub_f32_e32 v0, v40, v0
	v_sub_f32_e32 v1, v41, v1
	v_and_or_b32 v4, v48, s4, v43
	v_fma_f32 v2, v40, 2.0, -v0
	v_fma_f32 v3, v41, 2.0, -v1
	v_lshl_add_u32 v4, v4, 3, v35
	v_and_b32_e32 v43, 3, v24
	ds_write2_b64 v4, v[2:3], v[0:1] offset1:2
	v_lshlrev_b32_e32 v0, 3, v43
	s_waitcnt lgkmcnt(0)
	s_barrier
	global_load_dwordx2 v[8:9], v0, s[12:13] offset:16
	s_movk_i32 s4, 0xf8
	v_and_or_b32 v0, v44, s4, v43
	v_and_or_b32 v1, v45, s5, v43
	v_lshl_add_u32 v49, v0, 3, v35
	v_lshl_add_u32 v50, v1, 3, v35
	ds_read2_b64 v[0:3], v42 offset0:56 offset1:144
	ds_read_b64 v[10:11], v29
	ds_read_b64 v[12:13], v27 offset:6336
	ds_read_b64 v[14:15], v37
	ds_read_b64 v[16:17], v31
	;; [unrolled: 1-line block ×4, first 2 shown]
	ds_read2_b64 v[4:7], v18 offset0:104 offset1:192
	s_waitcnt vmcnt(0) lgkmcnt(0)
	s_barrier
	s_movk_i32 s4, 0x3f8
	v_mul_f32_e32 v51, v9, v1
	v_mul_f32_e32 v52, v9, v0
	;; [unrolled: 1-line block ×4, first 2 shown]
	v_fma_f32 v0, v8, v0, -v51
	v_fmac_f32_e32 v52, v8, v1
	v_fma_f32 v2, v8, v2, -v53
	v_fmac_f32_e32 v54, v8, v3
	v_sub_f32_e32 v0, v10, v0
	v_sub_f32_e32 v1, v11, v52
	;; [unrolled: 1-line block ×4, first 2 shown]
	v_fma_f32 v10, v10, 2.0, -v0
	v_fma_f32 v11, v11, 2.0, -v1
	;; [unrolled: 1-line block ×4, first 2 shown]
	ds_write2_b64 v49, v[10:11], v[0:1] offset1:4
	ds_write2_b64 v50, v[16:17], v[2:3] offset1:4
	v_mul_f32_e32 v0, v9, v5
	v_mul_f32_e32 v1, v9, v4
	v_fma_f32 v0, v8, v4, -v0
	v_fmac_f32_e32 v1, v8, v5
	v_sub_f32_e32 v0, v14, v0
	v_sub_f32_e32 v1, v15, v1
	v_and_or_b32 v4, v46, s4, v43
	v_fma_f32 v2, v14, 2.0, -v0
	v_fma_f32 v3, v15, 2.0, -v1
	v_lshl_add_u32 v4, v4, 3, v35
	ds_write2_b64 v4, v[2:3], v[0:1] offset1:4
	v_mul_f32_e32 v0, v9, v7
	v_mul_f32_e32 v1, v9, v6
	v_fma_f32 v0, v8, v6, -v0
	v_fmac_f32_e32 v1, v8, v7
	v_sub_f32_e32 v0, v33, v0
	v_sub_f32_e32 v1, v34, v1
	v_and_or_b32 v4, v47, s4, v43
	v_fma_f32 v2, v33, 2.0, -v0
	v_fma_f32 v3, v34, 2.0, -v1
	v_lshl_add_u32 v4, v4, 3, v35
	;; [unrolled: 11-line block ×3, first 2 shown]
	v_and_b32_e32 v49, 7, v24
	ds_write2_b64 v4, v[2:3], v[0:1] offset1:4
	v_lshlrev_b32_e32 v0, 3, v49
	s_waitcnt lgkmcnt(0)
	s_barrier
	global_load_dwordx2 v[8:9], v0, s[12:13] offset:48
	ds_read2_b64 v[0:3], v42 offset0:56 offset1:144
	ds_read2_b64 v[4:7], v18 offset0:104 offset1:192
	ds_read_b64 v[14:15], v37
	ds_read_b64 v[10:11], v31
	ds_read_b64 v[12:13], v27 offset:6336
	ds_read_b64 v[16:17], v29
	ds_read_b64 v[40:41], v38
	;; [unrolled: 1-line block ×3, first 2 shown]
	s_movk_i32 s4, 0xf0
	s_waitcnt vmcnt(0) lgkmcnt(0)
	s_barrier
	v_mul_f32_e32 v51, v9, v2
	v_mul_f32_e32 v54, v9, v7
	;; [unrolled: 1-line block ×7, first 2 shown]
	v_fmac_f32_e32 v51, v8, v3
	v_fma_f32 v3, v8, v6, -v54
	v_mul_f32_e32 v52, v9, v5
	v_mul_f32_e32 v53, v9, v4
	;; [unrolled: 1-line block ×3, first 2 shown]
	v_fma_f32 v0, v8, v0, -v33
	v_fmac_f32_e32 v34, v8, v1
	v_fma_f32 v1, v8, v2, -v50
	v_fma_f32 v50, v8, v12, -v56
	v_fmac_f32_e32 v57, v9, v12
	v_sub_f32_e32 v12, v40, v3
	v_fma_f32 v2, v8, v4, -v52
	v_fmac_f32_e32 v53, v8, v5
	v_fmac_f32_e32 v55, v8, v7
	v_sub_f32_e32 v8, v16, v0
	v_sub_f32_e32 v9, v17, v34
	v_fma_f32 v6, v40, 2.0, -v12
	v_and_or_b32 v40, v44, s4, v49
	v_fma_f32 v33, v16, 2.0, -v8
	v_fma_f32 v34, v17, 2.0, -v9
	v_lshl_add_u32 v40, v40, 3, v35
	s_movk_i32 s4, 0x1f0
	v_sub_f32_e32 v0, v10, v1
	v_sub_f32_e32 v1, v11, v51
	ds_write2_b64 v40, v[33:34], v[8:9] offset1:8
	v_and_or_b32 v40, v45, s4, v49
	v_fma_f32 v10, v10, 2.0, -v0
	v_fma_f32 v11, v11, 2.0, -v1
	v_lshl_add_u32 v40, v40, 3, v35
	s_movk_i32 s4, 0x3f0
	v_sub_f32_e32 v4, v14, v2
	v_sub_f32_e32 v5, v15, v53
	ds_write2_b64 v40, v[10:11], v[0:1] offset1:8
	v_and_or_b32 v40, v46, s4, v49
	v_fma_f32 v2, v14, 2.0, -v4
	v_fma_f32 v3, v15, 2.0, -v5
	v_lshl_add_u32 v40, v40, 3, v35
	v_sub_f32_e32 v13, v41, v55
	ds_write2_b64 v40, v[2:3], v[4:5] offset1:8
	v_and_or_b32 v40, v47, s4, v49
	v_fma_f32 v7, v41, 2.0, -v13
	v_lshl_add_u32 v40, v40, 3, v35
	v_sub_f32_e32 v16, v42, v50
	v_sub_f32_e32 v17, v43, v57
	ds_write2_b64 v40, v[6:7], v[12:13] offset1:8
	v_and_or_b32 v40, v48, s4, v49
	s_movk_i32 s4, 0x50
	v_fma_f32 v14, v42, 2.0, -v16
	v_fma_f32 v15, v43, 2.0, -v17
	v_lshl_add_u32 v40, v40, 3, v35
	v_cmp_gt_u32_e32 vcc, s4, v24
	ds_write2_b64 v40, v[14:15], v[16:17] offset1:8
	s_waitcnt lgkmcnt(0)
	s_barrier
	s_and_saveexec_b64 s[4:5], vcc
	s_cbranch_execz .LBB0_15
; %bb.14:
	v_add_u32_e32 v0, 0x400, v27
	ds_read_b64 v[33:34], v29
	ds_read2_b64 v[8:11], v27 offset0:80 offset1:160
	ds_read2_b64 v[0:3], v0 offset0:112 offset1:192
	;; [unrolled: 1-line block ×4, first 2 shown]
	v_add_u32_e32 v16, 0x1400, v27
	ds_read2_b64 v[16:19], v16 offset0:80 offset1:160
.LBB0_15:
	s_or_b64 exec, exec, s[4:5]
	s_waitcnt lgkmcnt(0)
	s_barrier
	s_and_saveexec_b64 s[4:5], vcc
	s_cbranch_execz .LBB0_17
; %bb.16:
	v_and_b32_e32 v60, 15, v24
	v_mul_u32_u24_e32 v40, 10, v60
	v_lshlrev_b32_e32 v61, 3, v40
	global_load_dwordx4 v[40:43], v61, s[12:13] offset:176
	global_load_dwordx4 v[44:47], v61, s[12:13] offset:112
	;; [unrolled: 1-line block ×5, first 2 shown]
	s_mov_b32 s6, 0xbf75a155
	s_mov_b32 s7, 0x3f575c64
	;; [unrolled: 1-line block ×5, first 2 shown]
	s_waitcnt vmcnt(4)
	v_mul_f32_e32 v61, v18, v43
	s_waitcnt vmcnt(3)
	v_mul_f32_e32 v62, v8, v45
	v_mul_f32_e32 v43, v19, v43
	;; [unrolled: 1-line block ×4, first 2 shown]
	v_fmac_f32_e32 v62, v9, v44
	v_fmac_f32_e32 v61, v19, v42
	v_mul_f32_e32 v45, v9, v45
	s_waitcnt vmcnt(2)
	v_mul_f32_e32 v65, v14, v51
	s_waitcnt vmcnt(1)
	v_mul_f32_e32 v66, v0, v53
	v_fmac_f32_e32 v64, v11, v46
	v_fma_f32 v18, v18, v42, -v43
	v_fmac_f32_e32 v63, v17, v40
	v_add_f32_e32 v42, v62, v61
	v_mul_f32_e32 v47, v11, v47
	v_mul_f32_e32 v41, v17, v41
	;; [unrolled: 1-line block ×6, first 2 shown]
	v_fma_f32 v44, v8, v44, -v45
	v_fmac_f32_e32 v65, v15, v50
	v_fmac_f32_e32 v66, v1, v52
	v_add_f32_e32 v43, v64, v63
	v_mul_f32_e32 v8, 0xbe11bafb, v42
	v_mul_f32_e32 v51, v15, v51
	;; [unrolled: 1-line block ×3, first 2 shown]
	s_waitcnt vmcnt(0)
	v_mul_f32_e32 v69, v6, v59
	v_mul_f32_e32 v70, v4, v57
	v_mul_f32_e32 v59, v7, v59
	v_fma_f32 v45, v10, v46, -v47
	v_fma_f32 v16, v16, v40, -v41
	;; [unrolled: 1-line block ×3, first 2 shown]
	v_fmac_f32_e32 v67, v13, v48
	v_fmac_f32_e32 v68, v3, v54
	v_fma_f32 v19, v12, v48, -v49
	v_sub_f32_e32 v12, v44, v18
	v_add_f32_e32 v46, v66, v65
	v_sub_f32_e32 v53, v62, v61
	v_mul_f32_e32 v9, 0xbf75a155, v43
	v_mov_b32_e32 v0, v8
	v_mul_f32_e32 v57, v5, v57
	v_fma_f32 v14, v14, v50, -v51
	v_fma_f32 v17, v2, v54, -v55
	v_fmac_f32_e32 v69, v7, v58
	v_fmac_f32_e32 v70, v5, v56
	v_fma_f32 v41, v6, v58, -v59
	v_sub_f32_e32 v13, v45, v16
	v_add_f32_e32 v48, v68, v67
	v_sub_f32_e32 v55, v64, v63
	v_mul_f32_e32 v10, 0x3ed4b147, v46
	v_mul_f32_e32 v59, 0xbf7d64f0, v53
	v_mov_b32_e32 v1, v9
	v_fmac_f32_e32 v0, 0x3f7d64f0, v12
	v_fma_f32 v40, v4, v56, -v57
	v_sub_f32_e32 v47, v15, v14
	v_add_f32_e32 v50, v70, v69
	v_add_f32_e32 v52, v44, v18
	v_sub_f32_e32 v57, v66, v65
	v_mul_f32_e32 v11, 0x3f575c64, v48
	v_mul_f32_e32 v71, 0x3e903f40, v55
	v_mov_b32_e32 v2, v10
	v_mov_b32_e32 v5, v59
	v_fmac_f32_e32 v1, 0xbe903f40, v13
	v_add_f32_e32 v0, v34, v0
	v_sub_f32_e32 v49, v17, v19
	v_add_f32_e32 v54, v45, v16
	v_mul_f32_e32 v58, 0xbf27a4f4, v50
	v_mul_f32_e32 v72, 0x3f68dda4, v57
	v_mov_b32_e32 v3, v11
	v_mov_b32_e32 v6, v71
	v_fmac_f32_e32 v2, 0xbf68dda4, v47
	v_fmac_f32_e32 v5, 0xbe11bafb, v52
	v_add_f32_e32 v0, v1, v0
	v_sub_f32_e32 v74, v68, v67
	v_sub_f32_e32 v51, v40, v41
	v_add_f32_e32 v56, v15, v14
	v_mov_b32_e32 v4, v58
	v_mov_b32_e32 v7, v72
	v_fmac_f32_e32 v3, 0x3f0a6770, v49
	v_fmac_f32_e32 v6, 0xbf75a155, v54
	v_add_f32_e32 v5, v33, v5
	v_add_f32_e32 v0, v2, v0
	v_mul_f32_e32 v75, 0xbf0a6770, v74
	v_fmac_f32_e32 v4, 0x3f4178ce, v51
	v_add_f32_e32 v5, v6, v5
	v_add_f32_e32 v0, v3, v0
	v_fmac_f32_e32 v7, 0x3ed4b147, v56
	v_add_f32_e32 v73, v17, v19
	v_mov_b32_e32 v2, v75
	v_sub_f32_e32 v77, v70, v69
	v_add_f32_e32 v1, v4, v0
	v_add_f32_e32 v0, v7, v5
	v_fmac_f32_e32 v2, 0x3f575c64, v73
	v_mul_f32_e32 v78, 0xbf4178ce, v77
	v_add_f32_e32 v0, v2, v0
	v_add_f32_e32 v76, v40, v41
	v_mov_b32_e32 v2, v78
	v_fmac_f32_e32 v2, 0xbf27a4f4, v76
	v_mul_f32_e32 v4, 0xbf75a155, v42
	v_add_f32_e32 v0, v2, v0
	v_mov_b32_e32 v2, v4
	v_mul_f32_e32 v5, 0x3f575c64, v43
	v_fmac_f32_e32 v2, 0x3e903f40, v12
	v_mov_b32_e32 v3, v5
	v_add_f32_e32 v2, v34, v2
	v_fmac_f32_e32 v3, 0xbf0a6770, v13
	v_mul_f32_e32 v6, 0xbf27a4f4, v46
	v_add_f32_e32 v2, v3, v2
	v_mov_b32_e32 v3, v6
	v_fmac_f32_e32 v3, 0x3f4178ce, v47
	v_mul_f32_e32 v7, 0x3ed4b147, v48
	v_add_f32_e32 v2, v3, v2
	v_mov_b32_e32 v3, v7
	;; [unrolled: 4-line block ×3, first 2 shown]
	v_mul_f32_e32 v80, 0x3f0a6770, v55
	v_fmac_f32_e32 v3, 0xbf75a155, v52
	v_mov_b32_e32 v81, v80
	v_add_f32_e32 v3, v33, v3
	v_fmac_f32_e32 v81, 0x3f575c64, v54
	v_add_f32_e32 v3, v81, v3
	v_mul_f32_e32 v81, 0xbf4178ce, v57
	v_mov_b32_e32 v82, v81
	v_fmac_f32_e32 v4, 0xbe903f40, v12
	v_fmac_f32_e32 v82, 0xbf27a4f4, v56
	v_add_f32_e32 v4, v34, v4
	v_fmac_f32_e32 v5, 0x3f0a6770, v13
	v_add_f32_e32 v3, v82, v3
	v_mul_f32_e32 v82, 0x3f68dda4, v74
	v_add_f32_e32 v4, v5, v4
	v_fmac_f32_e32 v6, 0xbf4178ce, v47
	v_fma_f32 v5, v52, s6, -v79
	v_mov_b32_e32 v83, v82
	v_add_f32_e32 v4, v6, v4
	v_add_f32_e32 v5, v33, v5
	v_fma_f32 v6, v54, s7, -v80
	v_fmac_f32_e32 v83, 0x3ed4b147, v73
	v_mul_f32_e32 v84, 0xbe11bafb, v50
	v_fmac_f32_e32 v7, 0x3f68dda4, v49
	v_add_f32_e32 v5, v6, v5
	v_fma_f32 v6, v56, s8, -v81
	v_add_f32_e32 v83, v83, v3
	v_mov_b32_e32 v3, v84
	v_mul_f32_e32 v85, 0xbf7d64f0, v77
	v_add_f32_e32 v4, v7, v4
	v_add_f32_e32 v5, v6, v5
	v_fma_f32 v6, v73, s9, -v82
	v_fmac_f32_e32 v84, 0xbf7d64f0, v51
	v_add_f32_e32 v6, v6, v5
	v_add_f32_e32 v5, v84, v4
	v_fma_f32 v4, v76, s14, -v85
	v_mul_f32_e32 v79, 0xbf4178ce, v12
	v_add_f32_e32 v4, v4, v6
	v_mov_b32_e32 v6, v79
	v_mul_f32_e32 v80, 0x3f7d64f0, v13
	v_fmac_f32_e32 v6, 0xbf27a4f4, v42
	v_mov_b32_e32 v7, v80
	v_fmac_f32_e32 v8, 0xbf7d64f0, v12
	v_add_f32_e32 v6, v34, v6
	v_fmac_f32_e32 v7, 0xbe11bafb, v43
	v_mul_f32_e32 v81, 0xbf0a6770, v47
	v_add_f32_e32 v8, v34, v8
	v_fmac_f32_e32 v9, 0x3e903f40, v13
	v_fmac_f32_e32 v3, 0x3f7d64f0, v51
	v_add_f32_e32 v6, v7, v6
	v_mov_b32_e32 v7, v81
	v_add_f32_e32 v8, v9, v8
	v_fmac_f32_e32 v10, 0x3f68dda4, v47
	v_fma_f32 v9, v52, s14, -v59
	v_add_f32_e32 v3, v3, v2
	v_mov_b32_e32 v2, v85
	v_fmac_f32_e32 v7, 0x3f575c64, v46
	v_mul_f32_e32 v82, 0xbe903f40, v49
	v_add_f32_e32 v8, v10, v8
	v_add_f32_e32 v9, v33, v9
	v_fma_f32 v10, v54, s6, -v71
	v_fmac_f32_e32 v2, 0xbe11bafb, v76
	v_add_f32_e32 v6, v7, v6
	v_mov_b32_e32 v7, v82
	v_fmac_f32_e32 v11, 0xbf0a6770, v49
	v_add_f32_e32 v9, v10, v9
	v_fma_f32 v10, v56, s9, -v72
	v_add_f32_e32 v2, v2, v83
	v_fmac_f32_e32 v7, 0xbf75a155, v48
	v_mul_f32_e32 v83, 0xbf4178ce, v53
	v_add_f32_e32 v8, v11, v8
	v_add_f32_e32 v9, v10, v9
	v_fma_f32 v10, v73, s7, -v75
	v_fmac_f32_e32 v58, 0xbf4178ce, v51
	v_add_f32_e32 v6, v7, v6
	v_fma_f32 v7, v52, s8, -v83
	v_mul_f32_e32 v84, 0x3f7d64f0, v55
	v_add_f32_e32 v10, v10, v9
	v_add_f32_e32 v9, v58, v8
	v_fma_f32 v8, v76, s8, -v78
	v_mul_f32_e32 v58, 0xbf68dda4, v12
	v_add_f32_e32 v7, v33, v7
	v_fma_f32 v85, v54, s14, -v84
	v_add_f32_e32 v8, v8, v10
	v_mov_b32_e32 v10, v58
	v_mul_f32_e32 v59, 0xbf4178ce, v13
	v_add_f32_e32 v7, v85, v7
	v_mul_f32_e32 v85, 0xbf0a6770, v57
	v_fmac_f32_e32 v10, 0x3ed4b147, v42
	v_mov_b32_e32 v11, v59
	v_fma_f32 v86, v56, s7, -v85
	v_add_f32_e32 v10, v34, v10
	v_fmac_f32_e32 v11, 0xbf27a4f4, v43
	v_mul_f32_e32 v71, 0x3e903f40, v47
	v_add_f32_e32 v7, v86, v7
	v_mul_f32_e32 v86, 0xbe903f40, v74
	v_add_f32_e32 v10, v11, v10
	v_mov_b32_e32 v11, v71
	v_fma_f32 v87, v73, s6, -v86
	v_mul_f32_e32 v88, 0x3f68dda4, v51
	v_fmac_f32_e32 v11, 0xbf75a155, v46
	v_mul_f32_e32 v72, 0x3f7d64f0, v49
	v_add_f32_e32 v87, v87, v7
	v_mov_b32_e32 v7, v88
	v_add_f32_e32 v10, v11, v10
	v_mov_b32_e32 v11, v72
	v_fmac_f32_e32 v7, 0x3ed4b147, v50
	v_mul_f32_e32 v89, 0x3f68dda4, v77
	v_fmac_f32_e32 v11, 0xbe11bafb, v48
	v_mul_f32_e32 v75, 0xbf68dda4, v53
	v_add_f32_e32 v7, v7, v6
	v_fma_f32 v6, v76, s9, -v89
	v_add_f32_e32 v10, v11, v10
	v_fma_f32 v11, v52, s9, -v75
	v_mul_f32_e32 v78, 0xbf4178ce, v55
	v_add_f32_e32 v6, v6, v87
	v_add_f32_e32 v11, v33, v11
	v_fma_f32 v87, v54, s8, -v78
	v_add_f32_e32 v11, v87, v11
	v_mul_f32_e32 v87, 0x3e903f40, v57
	v_fma_f32 v90, v56, s6, -v87
	v_add_f32_e32 v11, v90, v11
	v_mul_f32_e32 v90, 0x3f7d64f0, v74
	v_fma_f32 v91, v73, s14, -v90
	v_mul_f32_e32 v92, 0x3f0a6770, v51
	v_add_f32_e32 v91, v91, v11
	v_mov_b32_e32 v11, v92
	v_add_f32_e32 v44, v33, v44
	v_fmac_f32_e32 v11, 0x3f575c64, v50
	v_mul_f32_e32 v93, 0x3f0a6770, v77
	v_add_f32_e32 v44, v44, v45
	v_add_f32_e32 v11, v11, v10
	v_fma_f32 v10, v76, s7, -v93
	v_add_f32_e32 v15, v44, v15
	v_add_f32_e32 v10, v10, v91
	v_mul_f32_e32 v91, 0xbf0a6770, v12
	v_add_f32_e32 v15, v15, v17
	v_mov_b32_e32 v12, v91
	v_mul_f32_e32 v94, 0xbf68dda4, v13
	v_add_f32_e32 v15, v15, v40
	v_fmac_f32_e32 v12, 0x3f575c64, v42
	v_mov_b32_e32 v13, v94
	v_add_f32_e32 v15, v15, v41
	v_add_f32_e32 v12, v34, v12
	v_fmac_f32_e32 v13, 0x3ed4b147, v43
	v_mul_f32_e32 v47, 0xbf7d64f0, v47
	v_add_f32_e32 v15, v15, v19
	v_add_f32_e32 v12, v13, v12
	v_mov_b32_e32 v13, v47
	v_add_f32_e32 v14, v15, v14
	v_fmac_f32_e32 v13, 0xbe11bafb, v46
	v_mul_f32_e32 v49, 0xbf4178ce, v49
	v_add_f32_e32 v14, v14, v16
	v_add_f32_e32 v12, v13, v12
	v_mov_b32_e32 v13, v49
	v_add_f32_e32 v62, v34, v62
	v_add_f32_e32 v14, v14, v18
	v_fma_f32 v16, v42, s8, -v79
	v_fma_f32 v18, v42, s9, -v58
	;; [unrolled: 1-line block ×3, first 2 shown]
	v_fmac_f32_e32 v13, 0xbf27a4f4, v48
	v_mul_f32_e32 v53, 0xbf0a6770, v53
	v_add_f32_e32 v62, v62, v64
	v_add_f32_e32 v16, v34, v16
	;; [unrolled: 1-line block ×4, first 2 shown]
	v_fma_f32 v40, v43, s9, -v94
	v_add_f32_e32 v12, v13, v12
	v_fma_f32 v13, v52, s7, -v53
	v_mul_f32_e32 v55, 0xbf68dda4, v55
	v_add_f32_e32 v62, v62, v66
	v_fma_f32 v17, v43, s14, -v80
	v_fma_f32 v19, v43, s8, -v59
	v_add_f32_e32 v34, v40, v34
	v_fma_f32 v40, v46, s14, -v47
	v_add_f32_e32 v13, v33, v13
	v_fma_f32 v95, v54, s9, -v55
	v_mul_f32_e32 v57, 0xbf7d64f0, v57
	v_mul_f32_e32 v51, 0xbe903f40, v51
	v_add_f32_e32 v62, v62, v68
	v_add_f32_e32 v16, v17, v16
	v_fma_f32 v17, v46, s7, -v81
	v_add_f32_e32 v18, v19, v18
	v_fma_f32 v19, v46, s6, -v71
	;; [unrolled: 2-line block ×4, first 2 shown]
	v_mul_f32_e32 v74, 0xbf4178ce, v74
	v_add_f32_e32 v62, v62, v70
	v_add_f32_e32 v16, v17, v16
	v_fma_f32 v17, v48, s6, -v82
	v_add_f32_e32 v18, v19, v18
	v_fma_f32 v19, v48, s14, -v72
	;; [unrolled: 2-line block ×4, first 2 shown]
	v_add_f32_e32 v62, v62, v69
	v_add_f32_e32 v16, v17, v16
	v_fma_f32 v17, v50, s9, -v88
	v_fmac_f32_e32 v83, 0xbf27a4f4, v52
	v_add_f32_e32 v18, v19, v18
	v_fma_f32 v19, v50, s7, -v92
	v_fmac_f32_e32 v75, 0x3ed4b147, v52
	v_add_f32_e32 v34, v40, v34
	v_fmac_f32_e32 v53, 0x3f575c64, v52
	v_lshrrev_b32_e32 v40, 4, v24
	v_add_f32_e32 v95, v95, v13
	v_mov_b32_e32 v13, v51
	v_add_f32_e32 v62, v62, v67
	v_add_f32_e32 v17, v17, v16
	;; [unrolled: 1-line block ×3, first 2 shown]
	v_fmac_f32_e32 v84, 0xbe11bafb, v54
	v_add_f32_e32 v19, v19, v18
	v_add_f32_e32 v18, v33, v75
	v_fmac_f32_e32 v78, 0xbf27a4f4, v54
	v_add_f32_e32 v33, v33, v53
	v_fmac_f32_e32 v55, 0x3ed4b147, v54
	v_mul_u32_u24_e32 v40, 0xb0, v40
	v_fmac_f32_e32 v13, 0xbf75a155, v50
	v_mul_f32_e32 v77, 0xbe903f40, v77
	v_add_f32_e32 v62, v62, v65
	v_add_f32_e32 v16, v84, v16
	v_fmac_f32_e32 v85, 0x3f575c64, v56
	v_add_f32_e32 v18, v78, v18
	v_fmac_f32_e32 v87, 0xbf75a155, v56
	;; [unrolled: 2-line block ×3, first 2 shown]
	v_or_b32_e32 v40, v40, v60
	v_add_f32_e32 v13, v13, v12
	v_fma_f32 v12, v76, s6, -v77
	v_add_f32_e32 v62, v62, v63
	v_add_f32_e32 v16, v85, v16
	v_fmac_f32_e32 v86, 0xbf75a155, v73
	v_add_f32_e32 v18, v87, v18
	v_fmac_f32_e32 v90, 0xbe11bafb, v73
	;; [unrolled: 2-line block ×3, first 2 shown]
	v_lshlrev_b32_e32 v40, 3, v40
	v_add_f32_e32 v12, v12, v95
	v_add_f32_e32 v15, v62, v61
	;; [unrolled: 1-line block ×3, first 2 shown]
	v_fmac_f32_e32 v89, 0x3ed4b147, v76
	v_add_f32_e32 v18, v90, v18
	v_fmac_f32_e32 v93, 0x3f575c64, v76
	v_add_f32_e32 v33, v74, v33
	v_fmac_f32_e32 v77, 0xbf75a155, v76
	v_add3_u32 v36, 0, v40, v36
	v_add_f32_e32 v16, v89, v16
	v_add_f32_e32 v18, v93, v18
	;; [unrolled: 1-line block ×3, first 2 shown]
	ds_write2_b64 v36, v[14:15], v[12:13] offset1:16
	ds_write2_b64 v36, v[10:11], v[8:9] offset0:32 offset1:48
	ds_write2_b64 v36, v[6:7], v[4:5] offset0:64 offset1:80
	ds_write2_b64 v36, v[2:3], v[16:17] offset0:96 offset1:112
	ds_write2_b64 v36, v[0:1], v[18:19] offset0:128 offset1:144
	ds_write_b64 v36, v[33:34] offset:1280
.LBB0_17:
	s_or_b64 exec, exec, s[4:5]
	v_lshlrev_b32_e32 v0, 2, v24
	v_mov_b32_e32 v1, 0
	v_lshlrev_b64 v[2:3], 3, v[0:1]
	v_mov_b32_e32 v12, s13
	v_add_co_u32_e32 v10, vcc, s12, v2
	v_addc_co_u32_e32 v11, vcc, v12, v3, vcc
	v_lshlrev_b32_e32 v0, 2, v26
	s_waitcnt lgkmcnt(0)
	s_barrier
	global_load_dwordx4 v[2:5], v[10:11], off offset:1392
	global_load_dwordx4 v[6:9], v[10:11], off offset:1408
	v_lshlrev_b64 v[10:11], 3, v[0:1]
	v_add_u32_e32 v40, 0x1000, v27
	v_add_co_u32_e32 v18, vcc, s12, v10
	v_addc_co_u32_e32 v19, vcc, v12, v11, vcc
	global_load_dwordx4 v[10:13], v[18:19], off offset:1392
	global_load_dwordx4 v[14:17], v[18:19], off offset:1408
	ds_read_b64 v[18:19], v29
	v_add_u32_e32 v0, 0xc00, v27
	ds_read_b64 v[33:34], v39
	ds_read_b64 v[44:45], v38
	;; [unrolled: 1-line block ×4, first 2 shown]
	ds_read_b64 v[50:51], v27 offset:6336
	ds_read2_b64 v[36:39], v0 offset0:56 offset1:144
	ds_read2_b64 v[40:43], v40 offset0:104 offset1:192
	s_waitcnt vmcnt(0) lgkmcnt(0)
	s_barrier
	s_add_u32 s6, s12, 0x1b70
	s_addc_u32 s7, s13, 0
	v_cmp_ne_u32_e32 vcc, 0, v24
	v_mul_f32_e32 v0, v3, v47
	v_mul_f32_e32 v52, v3, v46
	;; [unrolled: 1-line block ×8, first 2 shown]
	v_fma_f32 v0, v2, v46, -v0
	v_fmac_f32_e32 v52, v2, v47
	v_fma_f32 v33, v4, v33, -v3
	v_fmac_f32_e32 v53, v4, v34
	v_fma_f32 v34, v6, v38, -v5
	v_mul_f32_e32 v2, v11, v45
	v_mul_f32_e32 v3, v37, v13
	v_fmac_f32_e32 v54, v6, v39
	v_fma_f32 v5, v8, v42, -v7
	v_fmac_f32_e32 v55, v8, v43
	v_mul_f32_e32 v39, v36, v13
	v_mul_f32_e32 v4, v41, v15
	;; [unrolled: 1-line block ×5, first 2 shown]
	v_fma_f32 v15, v10, v44, -v2
	v_fma_f32 v17, v36, v12, -v3
	v_add_f32_e32 v2, v18, v0
	v_add_f32_e32 v3, v33, v34
	v_fmac_f32_e32 v39, v37, v12
	v_fma_f32 v36, v40, v14, -v4
	v_fma_f32 v37, v50, v16, -v6
	v_sub_f32_e32 v4, v0, v33
	v_sub_f32_e32 v6, v5, v34
	v_add_f32_e32 v12, v2, v33
	v_fma_f32 v2, -0.5, v3, v18
	v_sub_f32_e32 v7, v52, v55
	v_add_f32_e32 v3, v4, v6
	v_mov_b32_e32 v4, v2
	v_sub_f32_e32 v9, v53, v54
	v_fmac_f32_e32 v2, 0xbf737871, v7
	v_fmac_f32_e32 v4, 0x3f737871, v7
	;; [unrolled: 1-line block ×4, first 2 shown]
	v_add_f32_e32 v8, v0, v5
	v_fmac_f32_e32 v2, 0x3e9e377a, v3
	v_fmac_f32_e32 v4, 0x3e9e377a, v3
	v_add_f32_e32 v3, v19, v52
	v_fma_f32 v18, -0.5, v8, v18
	v_add_f32_e32 v3, v3, v53
	v_mov_b32_e32 v6, v18
	v_add_f32_e32 v3, v3, v54
	v_mul_f32_e32 v38, v11, v44
	v_fmac_f32_e32 v18, 0x3f737871, v9
	v_fmac_f32_e32 v6, 0xbf737871, v9
	v_add_f32_e32 v9, v3, v55
	v_add_f32_e32 v3, v53, v54
	v_fmac_f32_e32 v38, v10, v45
	v_sub_f32_e32 v10, v33, v0
	v_sub_f32_e32 v11, v34, v5
	v_add_f32_e32 v8, v12, v34
	v_fma_f32 v3, -0.5, v3, v19
	v_add_f32_e32 v10, v10, v11
	v_add_f32_e32 v8, v8, v5
	v_fmac_f32_e32 v18, 0xbf167918, v7
	v_fmac_f32_e32 v6, 0x3f167918, v7
	v_sub_f32_e32 v0, v0, v5
	v_mov_b32_e32 v5, v3
	v_fmac_f32_e32 v6, 0x3e9e377a, v10
	v_fmac_f32_e32 v18, 0x3e9e377a, v10
	v_fmac_f32_e32 v5, 0xbf737871, v0
	v_sub_f32_e32 v10, v33, v34
	v_sub_f32_e32 v7, v52, v53
	;; [unrolled: 1-line block ×3, first 2 shown]
	v_fmac_f32_e32 v3, 0x3f737871, v0
	v_fmac_f32_e32 v5, 0xbf167918, v10
	v_add_f32_e32 v7, v7, v11
	v_fmac_f32_e32 v3, 0x3f167918, v10
	v_fmac_f32_e32 v5, 0x3e9e377a, v7
	;; [unrolled: 1-line block ×3, first 2 shown]
	v_add_f32_e32 v7, v52, v55
	v_fmac_f32_e32 v19, -0.5, v7
	v_mov_b32_e32 v7, v19
	v_fmac_f32_e32 v7, 0x3f737871, v10
	v_fmac_f32_e32 v19, 0xbf737871, v10
	;; [unrolled: 1-line block ×4, first 2 shown]
	v_add_f32_e32 v0, v48, v15
	v_add_f32_e32 v0, v0, v17
	;; [unrolled: 1-line block ×3, first 2 shown]
	v_sub_f32_e32 v11, v53, v52
	v_sub_f32_e32 v12, v54, v55
	v_add_f32_e32 v10, v0, v37
	v_add_f32_e32 v0, v17, v36
	v_fmac_f32_e32 v43, v51, v16
	v_add_f32_e32 v11, v11, v12
	v_fma_f32 v12, -0.5, v0, v48
	v_fmac_f32_e32 v42, v41, v14
	v_sub_f32_e32 v0, v38, v43
	v_mov_b32_e32 v14, v12
	v_fmac_f32_e32 v7, 0x3e9e377a, v11
	v_fmac_f32_e32 v19, 0x3e9e377a, v11
	;; [unrolled: 1-line block ×3, first 2 shown]
	v_sub_f32_e32 v11, v39, v42
	v_sub_f32_e32 v13, v15, v17
	;; [unrolled: 1-line block ×3, first 2 shown]
	v_fmac_f32_e32 v12, 0xbf737871, v0
	v_fmac_f32_e32 v14, 0x3f167918, v11
	v_add_f32_e32 v13, v13, v16
	v_fmac_f32_e32 v12, 0xbf167918, v11
	v_fmac_f32_e32 v14, 0x3e9e377a, v13
	;; [unrolled: 1-line block ×3, first 2 shown]
	v_add_f32_e32 v13, v15, v37
	v_fma_f32 v48, -0.5, v13, v48
	v_mov_b32_e32 v16, v48
	v_fmac_f32_e32 v16, 0xbf737871, v11
	v_fmac_f32_e32 v48, 0x3f737871, v11
	;; [unrolled: 1-line block ×4, first 2 shown]
	v_add_f32_e32 v0, v49, v38
	v_add_f32_e32 v0, v0, v39
	v_sub_f32_e32 v13, v17, v15
	v_sub_f32_e32 v33, v36, v37
	v_add_f32_e32 v0, v0, v42
	v_add_f32_e32 v13, v13, v33
	;; [unrolled: 1-line block ×4, first 2 shown]
	v_fmac_f32_e32 v16, 0x3e9e377a, v13
	v_fmac_f32_e32 v48, 0x3e9e377a, v13
	v_fma_f32 v13, -0.5, v0, v49
	v_sub_f32_e32 v0, v15, v37
	v_mov_b32_e32 v15, v13
	v_fmac_f32_e32 v15, 0xbf737871, v0
	v_sub_f32_e32 v33, v17, v36
	v_sub_f32_e32 v17, v38, v39
	;; [unrolled: 1-line block ×3, first 2 shown]
	v_fmac_f32_e32 v13, 0x3f737871, v0
	v_fmac_f32_e32 v15, 0xbf167918, v33
	v_add_f32_e32 v17, v17, v34
	v_fmac_f32_e32 v13, 0x3f167918, v33
	v_fmac_f32_e32 v15, 0x3e9e377a, v17
	;; [unrolled: 1-line block ×3, first 2 shown]
	v_add_f32_e32 v17, v38, v43
	v_fmac_f32_e32 v49, -0.5, v17
	v_mov_b32_e32 v17, v49
	v_fmac_f32_e32 v17, 0x3f737871, v33
	v_sub_f32_e32 v34, v39, v38
	v_sub_f32_e32 v36, v42, v43
	v_fmac_f32_e32 v49, 0xbf737871, v33
	v_fmac_f32_e32 v17, 0xbf167918, v0
	v_add_f32_e32 v34, v34, v36
	v_fmac_f32_e32 v49, 0x3f167918, v0
	v_add_u32_e32 v0, 0xa00, v27
	v_fmac_f32_e32 v17, 0x3e9e377a, v34
	v_fmac_f32_e32 v49, 0x3e9e377a, v34
	ds_write2_b64 v27, v[8:9], v[4:5] offset1:176
	ds_write2_b64 v0, v[6:7], v[18:19] offset0:32 offset1:208
	ds_write_b64 v27, v[2:3] offset:5632
	ds_write2_b64 v31, v[10:11], v[14:15] offset1:176
	v_add_u32_e32 v0, 0xa00, v31
	ds_write2_b64 v0, v[16:17], v[48:49] offset0:32 offset1:208
	ds_write_b64 v31, v[12:13] offset:5632
	s_waitcnt lgkmcnt(0)
	s_barrier
	ds_read_b64 v[2:3], v29
	v_sub_u32_e32 v4, v35, v25
                                        ; implicit-def: $vgpr0
                                        ; implicit-def: $vgpr5
                                        ; implicit-def: $vgpr6
	s_and_saveexec_b64 s[4:5], vcc
	s_xor_b64 s[4:5], exec, s[4:5]
	s_cbranch_execz .LBB0_19
; %bb.18:
	v_mov_b32_e32 v25, v1
	v_lshlrev_b64 v[0:1], 3, v[24:25]
	v_mov_b32_e32 v5, s7
	v_add_co_u32_e32 v0, vcc, s6, v0
	v_addc_co_u32_e32 v1, vcc, v5, v1, vcc
	global_load_dwordx2 v[7:8], v[0:1], off
	ds_read_b64 v[0:1], v4 offset:7040
	s_waitcnt lgkmcnt(0)
	v_add_f32_e32 v9, v0, v2
	v_sub_f32_e32 v0, v2, v0
	v_add_f32_e32 v5, v1, v3
	v_sub_f32_e32 v1, v3, v1
	v_mul_f32_e32 v3, 0.5, v0
	v_mul_f32_e32 v2, 0.5, v5
	;; [unrolled: 1-line block ×3, first 2 shown]
	s_waitcnt vmcnt(0)
	v_mul_f32_e32 v1, v8, v3
	v_fma_f32 v6, v2, v8, v0
	v_fma_f32 v8, v2, v8, -v0
	v_fma_f32 v5, 0.5, v9, v1
	v_fma_f32 v0, v9, 0.5, -v1
	v_fma_f32 v6, -v7, v3, v6
	v_fmac_f32_e32 v5, v7, v2
	v_fma_f32 v0, -v7, v2, v0
	v_fma_f32 v1, -v7, v3, v8
                                        ; implicit-def: $vgpr2_vgpr3
.LBB0_19:
	s_andn2_saveexec_b64 s[4:5], s[4:5]
	s_cbranch_execz .LBB0_21
; %bb.20:
	ds_read_b32 v1, v35 offset:3524
	s_waitcnt lgkmcnt(1)
	v_add_f32_e32 v5, v2, v3
	v_sub_f32_e32 v0, v2, v3
	v_mov_b32_e32 v6, 0
	s_waitcnt lgkmcnt(0)
	v_xor_b32_e32 v1, 0x80000000, v1
	ds_write_b32 v35, v1 offset:3524
	v_mov_b32_e32 v1, 0
.LBB0_21:
	s_or_b64 exec, exec, s[4:5]
	v_mov_b32_e32 v27, 0
	s_waitcnt lgkmcnt(0)
	v_lshlrev_b64 v[2:3], 3, v[26:27]
	v_mov_b32_e32 v7, s7
	v_add_co_u32_e32 v2, vcc, s6, v2
	v_addc_co_u32_e32 v3, vcc, v7, v3, vcc
	global_load_dwordx2 v[2:3], v[2:3], off
	v_mov_b32_e32 v33, v27
	v_lshlrev_b64 v[7:8], 3, v[32:33]
	v_mov_b32_e32 v9, s7
	v_add_co_u32_e32 v7, vcc, s6, v7
	v_addc_co_u32_e32 v8, vcc, v9, v8, vcc
	global_load_dwordx2 v[7:8], v[7:8], off
	v_mov_b32_e32 v31, v27
	v_lshlrev_b64 v[9:10], 3, v[30:31]
	v_mov_b32_e32 v11, s7
	v_add_co_u32_e32 v9, vcc, s6, v9
	v_addc_co_u32_e32 v10, vcc, v11, v10, vcc
	global_load_dwordx2 v[9:10], v[9:10], off
	ds_write2_b32 v29, v5, v6 offset1:1
	ds_write_b64 v4, v[0:1] offset:7040
	v_mov_b32_e32 v29, v27
	v_lshlrev_b64 v[11:12], 3, v[28:29]
	v_mov_b32_e32 v15, s7
	v_add_co_u32_e32 v11, vcc, s6, v11
	v_lshl_add_u32 v13, v26, 3, v35
	v_addc_co_u32_e32 v12, vcc, v15, v12, vcc
	ds_read_b64 v[0:1], v13
	ds_read_b64 v[5:6], v4 offset:6336
	global_load_dwordx2 v[11:12], v[11:12], off
	v_lshl_add_u32 v14, v32, 3, v35
	s_waitcnt lgkmcnt(0)
	v_add_f32_e32 v15, v0, v5
	v_sub_f32_e32 v0, v0, v5
	v_add_f32_e32 v16, v1, v6
	v_sub_f32_e32 v1, v1, v6
	v_mul_f32_e32 v0, 0.5, v0
	v_mul_f32_e32 v5, 0.5, v16
	v_mul_f32_e32 v1, 0.5, v1
	s_waitcnt vmcnt(3)
	v_mul_f32_e32 v6, v3, v0
	v_fma_f32 v16, v5, v3, v1
	v_fma_f32 v1, v5, v3, -v1
	v_fma_f32 v3, 0.5, v15, v6
	v_fma_f32 v16, -v2, v0, v16
	v_fma_f32 v6, v15, 0.5, -v6
	v_fmac_f32_e32 v3, v2, v5
	v_fma_f32 v1, -v2, v0, v1
	v_fma_f32 v0, -v2, v5, v6
	ds_write2_b32 v13, v3, v16 offset1:1
	ds_write_b64 v4, v[0:1] offset:6336
	ds_read_b64 v[0:1], v14
	ds_read_b64 v[2:3], v4 offset:5632
	v_lshl_add_u32 v5, v30, 3, v35
	s_waitcnt lgkmcnt(0)
	v_add_f32_e32 v6, v0, v2
	v_sub_f32_e32 v0, v0, v2
	v_add_f32_e32 v13, v1, v3
	v_sub_f32_e32 v1, v1, v3
	v_mul_f32_e32 v0, 0.5, v0
	v_mul_f32_e32 v2, 0.5, v13
	v_mul_f32_e32 v1, 0.5, v1
	s_waitcnt vmcnt(2)
	v_mul_f32_e32 v3, v8, v0
	v_fma_f32 v13, v2, v8, v1
	v_fma_f32 v1, v2, v8, -v1
	v_fma_f32 v8, 0.5, v6, v3
	v_fma_f32 v13, -v7, v0, v13
	v_fma_f32 v3, v6, 0.5, -v3
	v_fmac_f32_e32 v8, v7, v2
	v_fma_f32 v1, -v7, v0, v1
	v_fma_f32 v0, -v7, v2, v3
	ds_write2_b32 v14, v8, v13 offset1:1
	ds_write_b64 v4, v[0:1] offset:5632
	ds_read_b64 v[0:1], v5
	ds_read_b64 v[2:3], v4 offset:4928
	;; [unrolled: 23-line block ×3, first 2 shown]
	s_waitcnt lgkmcnt(0)
	v_add_f32_e32 v5, v0, v2
	v_sub_f32_e32 v0, v0, v2
	v_add_f32_e32 v7, v1, v3
	v_sub_f32_e32 v1, v1, v3
	v_mul_f32_e32 v0, 0.5, v0
	v_mul_f32_e32 v2, 0.5, v7
	;; [unrolled: 1-line block ×3, first 2 shown]
	s_waitcnt vmcnt(0)
	v_mul_f32_e32 v3, v12, v0
	v_fma_f32 v7, v2, v12, v1
	v_fma_f32 v8, 0.5, v5, v3
	v_fma_f32 v1, v2, v12, -v1
	v_fma_f32 v7, -v11, v0, v7
	v_fma_f32 v3, v5, 0.5, -v3
	v_fmac_f32_e32 v8, v11, v2
	v_fma_f32 v1, -v11, v0, v1
	v_fma_f32 v0, -v11, v2, v3
	ds_write2_b32 v6, v8, v7 offset1:1
	ds_write_b64 v4, v[0:1] offset:4224
	s_waitcnt lgkmcnt(0)
	s_barrier
	s_and_saveexec_b64 s[4:5], s[0:1]
	s_cbranch_execz .LBB0_24
; %bb.22:
	v_mul_lo_u32 v0, s3, v22
	v_mul_lo_u32 v3, s2, v23
	v_mad_u64_u32 v[1:2], s[0:1], s2, v22, 0
	v_mov_b32_e32 v7, s11
	v_mov_b32_e32 v25, v27
	v_add3_u32 v2, v2, v3, v0
	v_lshlrev_b64 v[1:2], 3, v[1:2]
	v_lshl_add_u32 v0, v24, 3, v35
	v_add_co_u32_e32 v1, vcc, s10, v1
	v_addc_co_u32_e32 v9, vcc, v7, v2, vcc
	v_lshlrev_b64 v[7:8], 3, v[20:21]
	ds_read2_b64 v[3:6], v0 offset1:88
	v_add_co_u32_e32 v2, vcc, v1, v7
	v_addc_co_u32_e32 v1, vcc, v9, v8, vcc
	v_lshlrev_b64 v[7:8], 3, v[24:25]
	v_add_u32_e32 v26, 0x58, v24
	v_add_co_u32_e32 v7, vcc, v2, v7
	v_addc_co_u32_e32 v8, vcc, v1, v8, vcc
	s_waitcnt lgkmcnt(0)
	global_store_dwordx2 v[7:8], v[3:4], off
	v_lshlrev_b64 v[3:4], 3, v[26:27]
	v_add_u32_e32 v26, 0xb0, v24
	v_add_co_u32_e32 v3, vcc, v2, v3
	v_addc_co_u32_e32 v4, vcc, v1, v4, vcc
	global_store_dwordx2 v[3:4], v[5:6], off
	v_add_u32_e32 v3, 0x400, v0
	ds_read2_b64 v[3:6], v3 offset0:48 offset1:136
	v_lshlrev_b64 v[7:8], 3, v[26:27]
	v_add_u32_e32 v26, 0x108, v24
	v_add_co_u32_e32 v7, vcc, v2, v7
	v_addc_co_u32_e32 v8, vcc, v1, v8, vcc
	s_waitcnt lgkmcnt(0)
	global_store_dwordx2 v[7:8], v[3:4], off
	v_lshlrev_b64 v[3:4], 3, v[26:27]
	v_add_u32_e32 v26, 0x160, v24
	v_add_co_u32_e32 v3, vcc, v2, v3
	v_addc_co_u32_e32 v4, vcc, v1, v4, vcc
	global_store_dwordx2 v[3:4], v[5:6], off
	v_add_u32_e32 v3, 0x800, v0
	ds_read2_b64 v[3:6], v3 offset0:96 offset1:184
	v_lshlrev_b64 v[7:8], 3, v[26:27]
	v_add_u32_e32 v26, 0x1b8, v24
	v_add_co_u32_e32 v7, vcc, v2, v7
	v_addc_co_u32_e32 v8, vcc, v1, v8, vcc
	s_waitcnt lgkmcnt(0)
	global_store_dwordx2 v[7:8], v[3:4], off
	v_lshlrev_b64 v[3:4], 3, v[26:27]
	v_add_u32_e32 v26, 0x210, v24
	v_add_co_u32_e32 v3, vcc, v2, v3
	v_addc_co_u32_e32 v4, vcc, v1, v4, vcc
	global_store_dwordx2 v[3:4], v[5:6], off
	v_add_u32_e32 v3, 0x1000, v0
	ds_read2_b64 v[3:6], v3 offset0:16 offset1:104
	v_lshlrev_b64 v[7:8], 3, v[26:27]
	v_add_u32_e32 v26, 0x268, v24
	v_add_co_u32_e32 v7, vcc, v2, v7
	v_addc_co_u32_e32 v8, vcc, v1, v8, vcc
	s_waitcnt lgkmcnt(0)
	global_store_dwordx2 v[7:8], v[3:4], off
	v_lshlrev_b64 v[3:4], 3, v[26:27]
	v_add_u32_e32 v26, 0x2c0, v24
	v_add_co_u32_e32 v3, vcc, v2, v3
	v_addc_co_u32_e32 v4, vcc, v1, v4, vcc
	global_store_dwordx2 v[3:4], v[5:6], off
	v_add_u32_e32 v3, 0x1400, v0
	ds_read2_b64 v[3:6], v3 offset0:64 offset1:152
	v_lshlrev_b64 v[7:8], 3, v[26:27]
	v_add_u32_e32 v26, 0x318, v24
	v_add_co_u32_e32 v7, vcc, v2, v7
	v_addc_co_u32_e32 v8, vcc, v1, v8, vcc
	s_waitcnt lgkmcnt(0)
	global_store_dwordx2 v[7:8], v[3:4], off
	v_lshlrev_b64 v[3:4], 3, v[26:27]
	s_movk_i32 s0, 0x57
	v_add_co_u32_e32 v3, vcc, v2, v3
	v_addc_co_u32_e32 v4, vcc, v1, v4, vcc
	v_cmp_eq_u32_e32 vcc, s0, v24
	global_store_dwordx2 v[3:4], v[5:6], off
	s_and_b64 exec, exec, vcc
	s_cbranch_execz .LBB0_24
; %bb.23:
	ds_read_b64 v[3:4], v0 offset:6344
	v_add_co_u32_e32 v0, vcc, 0x1000, v2
	v_addc_co_u32_e32 v1, vcc, 0, v1, vcc
	s_waitcnt lgkmcnt(0)
	global_store_dwordx2 v[0:1], v[3:4], off offset:2944
.LBB0_24:
	s_endpgm
	.section	.rodata,"a",@progbits
	.p2align	6, 0x0
	.amdhsa_kernel fft_rtc_fwd_len880_factors_2_2_2_2_11_5_wgs_176_tpt_88_halfLds_sp_op_CI_CI_unitstride_sbrr_R2C_dirReg
		.amdhsa_group_segment_fixed_size 0
		.amdhsa_private_segment_fixed_size 0
		.amdhsa_kernarg_size 104
		.amdhsa_user_sgpr_count 6
		.amdhsa_user_sgpr_private_segment_buffer 1
		.amdhsa_user_sgpr_dispatch_ptr 0
		.amdhsa_user_sgpr_queue_ptr 0
		.amdhsa_user_sgpr_kernarg_segment_ptr 1
		.amdhsa_user_sgpr_dispatch_id 0
		.amdhsa_user_sgpr_flat_scratch_init 0
		.amdhsa_user_sgpr_private_segment_size 0
		.amdhsa_uses_dynamic_stack 0
		.amdhsa_system_sgpr_private_segment_wavefront_offset 0
		.amdhsa_system_sgpr_workgroup_id_x 1
		.amdhsa_system_sgpr_workgroup_id_y 0
		.amdhsa_system_sgpr_workgroup_id_z 0
		.amdhsa_system_sgpr_workgroup_info 0
		.amdhsa_system_vgpr_workitem_id 0
		.amdhsa_next_free_vgpr 96
		.amdhsa_next_free_sgpr 28
		.amdhsa_reserve_vcc 1
		.amdhsa_reserve_flat_scratch 0
		.amdhsa_float_round_mode_32 0
		.amdhsa_float_round_mode_16_64 0
		.amdhsa_float_denorm_mode_32 3
		.amdhsa_float_denorm_mode_16_64 3
		.amdhsa_dx10_clamp 1
		.amdhsa_ieee_mode 1
		.amdhsa_fp16_overflow 0
		.amdhsa_exception_fp_ieee_invalid_op 0
		.amdhsa_exception_fp_denorm_src 0
		.amdhsa_exception_fp_ieee_div_zero 0
		.amdhsa_exception_fp_ieee_overflow 0
		.amdhsa_exception_fp_ieee_underflow 0
		.amdhsa_exception_fp_ieee_inexact 0
		.amdhsa_exception_int_div_zero 0
	.end_amdhsa_kernel
	.text
.Lfunc_end0:
	.size	fft_rtc_fwd_len880_factors_2_2_2_2_11_5_wgs_176_tpt_88_halfLds_sp_op_CI_CI_unitstride_sbrr_R2C_dirReg, .Lfunc_end0-fft_rtc_fwd_len880_factors_2_2_2_2_11_5_wgs_176_tpt_88_halfLds_sp_op_CI_CI_unitstride_sbrr_R2C_dirReg
                                        ; -- End function
	.section	.AMDGPU.csdata,"",@progbits
; Kernel info:
; codeLenInByte = 8296
; NumSgprs: 32
; NumVgprs: 96
; ScratchSize: 0
; MemoryBound: 0
; FloatMode: 240
; IeeeMode: 1
; LDSByteSize: 0 bytes/workgroup (compile time only)
; SGPRBlocks: 3
; VGPRBlocks: 23
; NumSGPRsForWavesPerEU: 32
; NumVGPRsForWavesPerEU: 96
; Occupancy: 2
; WaveLimiterHint : 1
; COMPUTE_PGM_RSRC2:SCRATCH_EN: 0
; COMPUTE_PGM_RSRC2:USER_SGPR: 6
; COMPUTE_PGM_RSRC2:TRAP_HANDLER: 0
; COMPUTE_PGM_RSRC2:TGID_X_EN: 1
; COMPUTE_PGM_RSRC2:TGID_Y_EN: 0
; COMPUTE_PGM_RSRC2:TGID_Z_EN: 0
; COMPUTE_PGM_RSRC2:TIDIG_COMP_CNT: 0
	.type	__hip_cuid_b5df746d4e7cbb44,@object ; @__hip_cuid_b5df746d4e7cbb44
	.section	.bss,"aw",@nobits
	.globl	__hip_cuid_b5df746d4e7cbb44
__hip_cuid_b5df746d4e7cbb44:
	.byte	0                               ; 0x0
	.size	__hip_cuid_b5df746d4e7cbb44, 1

	.ident	"AMD clang version 19.0.0git (https://github.com/RadeonOpenCompute/llvm-project roc-6.4.0 25133 c7fe45cf4b819c5991fe208aaa96edf142730f1d)"
	.section	".note.GNU-stack","",@progbits
	.addrsig
	.addrsig_sym __hip_cuid_b5df746d4e7cbb44
	.amdgpu_metadata
---
amdhsa.kernels:
  - .args:
      - .actual_access:  read_only
        .address_space:  global
        .offset:         0
        .size:           8
        .value_kind:     global_buffer
      - .offset:         8
        .size:           8
        .value_kind:     by_value
      - .actual_access:  read_only
        .address_space:  global
        .offset:         16
        .size:           8
        .value_kind:     global_buffer
      - .actual_access:  read_only
        .address_space:  global
        .offset:         24
        .size:           8
        .value_kind:     global_buffer
      - .actual_access:  read_only
        .address_space:  global
        .offset:         32
        .size:           8
        .value_kind:     global_buffer
      - .offset:         40
        .size:           8
        .value_kind:     by_value
      - .actual_access:  read_only
        .address_space:  global
        .offset:         48
        .size:           8
        .value_kind:     global_buffer
      - .actual_access:  read_only
        .address_space:  global
        .offset:         56
        .size:           8
        .value_kind:     global_buffer
      - .offset:         64
        .size:           4
        .value_kind:     by_value
      - .actual_access:  read_only
        .address_space:  global
        .offset:         72
        .size:           8
        .value_kind:     global_buffer
      - .actual_access:  read_only
        .address_space:  global
        .offset:         80
        .size:           8
        .value_kind:     global_buffer
      - .actual_access:  read_only
        .address_space:  global
        .offset:         88
        .size:           8
        .value_kind:     global_buffer
      - .actual_access:  write_only
        .address_space:  global
        .offset:         96
        .size:           8
        .value_kind:     global_buffer
    .group_segment_fixed_size: 0
    .kernarg_segment_align: 8
    .kernarg_segment_size: 104
    .language:       OpenCL C
    .language_version:
      - 2
      - 0
    .max_flat_workgroup_size: 176
    .name:           fft_rtc_fwd_len880_factors_2_2_2_2_11_5_wgs_176_tpt_88_halfLds_sp_op_CI_CI_unitstride_sbrr_R2C_dirReg
    .private_segment_fixed_size: 0
    .sgpr_count:     32
    .sgpr_spill_count: 0
    .symbol:         fft_rtc_fwd_len880_factors_2_2_2_2_11_5_wgs_176_tpt_88_halfLds_sp_op_CI_CI_unitstride_sbrr_R2C_dirReg.kd
    .uniform_work_group_size: 1
    .uses_dynamic_stack: false
    .vgpr_count:     96
    .vgpr_spill_count: 0
    .wavefront_size: 64
amdhsa.target:   amdgcn-amd-amdhsa--gfx906
amdhsa.version:
  - 1
  - 2
...

	.end_amdgpu_metadata
